;; amdgpu-corpus repo=ROCm/rocFFT kind=compiled arch=gfx906 opt=O3
	.text
	.amdgcn_target "amdgcn-amd-amdhsa--gfx906"
	.amdhsa_code_object_version 6
	.protected	fft_rtc_back_len192_factors_8_6_4_wgs_480_tpt_48_dp_ip_CI_sbcc_twdbase6_3step_dirReg_intrinsicReadWrite ; -- Begin function fft_rtc_back_len192_factors_8_6_4_wgs_480_tpt_48_dp_ip_CI_sbcc_twdbase6_3step_dirReg_intrinsicReadWrite
	.globl	fft_rtc_back_len192_factors_8_6_4_wgs_480_tpt_48_dp_ip_CI_sbcc_twdbase6_3step_dirReg_intrinsicReadWrite
	.p2align	8
	.type	fft_rtc_back_len192_factors_8_6_4_wgs_480_tpt_48_dp_ip_CI_sbcc_twdbase6_3step_dirReg_intrinsicReadWrite,@function
fft_rtc_back_len192_factors_8_6_4_wgs_480_tpt_48_dp_ip_CI_sbcc_twdbase6_3step_dirReg_intrinsicReadWrite: ; @fft_rtc_back_len192_factors_8_6_4_wgs_480_tpt_48_dp_ip_CI_sbcc_twdbase6_3step_dirReg_intrinsicReadWrite
; %bb.0:
	s_load_dwordx8 s[8:15], s[4:5], 0x8
	s_movk_i32 s0, 0xc0
	v_cmp_gt_u32_e32 vcc, s0, v0
	s_and_saveexec_b64 s[0:1], vcc
	s_cbranch_execz .LBB0_2
; %bb.1:
	v_lshlrev_b32_e32 v5, 4, v0
	s_waitcnt lgkmcnt(0)
	global_load_dwordx4 v[1:4], v5, s[8:9]
	v_add_u32_e32 v5, 0, v5
	v_add_u32_e32 v5, 0x7800, v5
	s_waitcnt vmcnt(0)
	ds_write2_b64 v5, v[1:2], v[3:4] offset1:1
.LBB0_2:
	s_or_b64 exec, exec, s[0:1]
	s_waitcnt lgkmcnt(0)
	s_load_dwordx2 s[22:23], s[12:13], 0x8
	s_mov_b32 s7, 0
	s_mov_b64 s[24:25], 0
	s_waitcnt lgkmcnt(0)
	s_add_u32 s0, s22, -1
	s_addc_u32 s1, s23, -1
	s_add_u32 s2, 0, 0x99986000
	s_addc_u32 s3, 0, 0x59
	s_mul_hi_u32 s9, s2, -10
	s_add_i32 s3, s3, 0x19999940
	s_sub_i32 s9, s9, s2
	s_mul_i32 s18, s3, -10
	s_mul_i32 s8, s2, -10
	s_add_i32 s9, s9, s18
	s_mul_hi_u32 s16, s3, s8
	s_mul_i32 s17, s3, s8
	s_mul_i32 s19, s2, s9
	s_mul_hi_u32 s8, s2, s8
	s_mul_hi_u32 s18, s2, s9
	s_add_u32 s8, s8, s19
	s_addc_u32 s18, 0, s18
	s_add_u32 s8, s8, s17
	s_mul_hi_u32 s19, s3, s9
	s_addc_u32 s8, s18, s16
	s_addc_u32 s16, s19, 0
	s_mul_i32 s9, s3, s9
	s_add_u32 s8, s8, s9
	v_mov_b32_e32 v1, s8
	s_addc_u32 s9, 0, s16
	v_add_co_u32_e32 v1, vcc, s2, v1
	s_cmp_lg_u64 vcc, 0
	s_addc_u32 s2, s3, s9
	v_readfirstlane_b32 s9, v1
	s_mul_i32 s8, s0, s2
	s_mul_hi_u32 s16, s0, s9
	s_mul_hi_u32 s3, s0, s2
	s_add_u32 s8, s16, s8
	s_addc_u32 s3, 0, s3
	s_mul_hi_u32 s17, s1, s9
	s_mul_i32 s9, s1, s9
	s_add_u32 s8, s8, s9
	s_mul_hi_u32 s16, s1, s2
	s_addc_u32 s3, s3, s17
	s_addc_u32 s8, s16, 0
	s_mul_i32 s2, s1, s2
	s_add_u32 s2, s3, s2
	s_addc_u32 s3, 0, s8
	s_add_u32 s8, s2, 1
	s_addc_u32 s9, s3, 0
	s_add_u32 s16, s2, 2
	s_mul_i32 s18, s3, 10
	s_mul_hi_u32 s19, s2, 10
	s_addc_u32 s17, s3, 0
	s_add_i32 s19, s19, s18
	s_mul_i32 s18, s2, 10
	v_mov_b32_e32 v1, s18
	v_sub_co_u32_e32 v1, vcc, s0, v1
	s_cmp_lg_u64 vcc, 0
	s_subb_u32 s0, s1, s19
	v_subrev_co_u32_e32 v2, vcc, 10, v1
	s_cmp_lg_u64 vcc, 0
	s_subb_u32 s1, s0, 0
	v_readfirstlane_b32 s18, v2
	s_cmp_gt_u32 s18, 9
	s_cselect_b32 s18, -1, 0
	s_cmp_eq_u32 s1, 0
	s_cselect_b32 s1, s18, -1
	s_cmp_lg_u32 s1, 0
	s_cselect_b32 s1, s16, s8
	s_cselect_b32 s8, s17, s9
	v_readfirstlane_b32 s9, v1
	s_cmp_gt_u32 s9, 9
	s_cselect_b32 s9, -1, 0
	s_cmp_eq_u32 s0, 0
	s_cselect_b32 s0, s9, -1
	s_cmp_lg_u32 s0, 0
	s_cselect_b32 s1, s1, s2
	s_cselect_b32 s0, s8, s3
	s_add_u32 s2, s1, 1
	s_addc_u32 s3, s0, 0
	v_mov_b32_e32 v1, s2
	v_mov_b32_e32 v2, s3
	v_cmp_lt_u64_e32 vcc, s[6:7], v[1:2]
	s_cbranch_vccnz .LBB0_4
; %bb.3:
	v_cvt_f32_u32_e32 v1, s2
	s_sub_i32 s0, 0, s2
	s_mov_b32 s25, s7
	v_rcp_iflag_f32_e32 v1, v1
	v_mul_f32_e32 v1, 0x4f7ffffe, v1
	v_cvt_u32_f32_e32 v1, v1
	v_readfirstlane_b32 s1, v1
	s_mul_i32 s0, s0, s1
	s_mul_hi_u32 s0, s1, s0
	s_add_i32 s1, s1, s0
	s_mul_hi_u32 s0, s6, s1
	s_mul_i32 s8, s0, s2
	s_sub_i32 s8, s6, s8
	s_add_i32 s1, s0, 1
	s_sub_i32 s9, s8, s2
	s_cmp_ge_u32 s8, s2
	s_cselect_b32 s0, s1, s0
	s_cselect_b32 s8, s9, s8
	s_add_i32 s1, s0, 1
	s_cmp_ge_u32 s8, s2
	s_cselect_b32 s24, s1, s0
.LBB0_4:
	s_mul_i32 s0, s24, s3
	s_mul_hi_u32 s1, s24, s2
	s_load_dwordx2 s[8:9], s[4:5], 0x58
	s_load_dwordx2 s[20:21], s[4:5], 0x0
	s_load_dwordx4 s[16:19], s[14:15], 0x0
	s_add_i32 s1, s1, s0
	s_mul_i32 s0, s24, s2
	s_sub_u32 s33, s6, s0
	s_subb_u32 s0, 0, s1
	s_mul_i32 s0, s0, 10
	s_waitcnt lgkmcnt(0)
	s_mul_hi_u32 s17, s33, 10
	s_add_i32 s17, s17, s0
	s_mul_i32 s33, s33, 10
	s_mul_i32 s0, s18, s17
	s_mul_hi_u32 s1, s18, s33
	s_add_i32 s0, s1, s0
	s_mul_i32 s1, s19, s33
	s_add_i32 s36, s0, s1
	v_cmp_lt_u64_e64 s[0:1], s[10:11], 3
	s_mul_i32 s19, s18, s33
	s_and_b64 vcc, exec, s[0:1]
	s_cbranch_vccnz .LBB0_12
; %bb.5:
	s_add_u32 s4, s14, 16
	s_addc_u32 s5, s15, 0
	s_add_u32 s12, s12, 16
	v_mov_b32_e32 v1, s10
	s_addc_u32 s13, s13, 0
	s_mov_b64 s[26:27], 2
	s_mov_b32 s28, 0
	v_mov_b32_e32 v2, s11
.LBB0_6:                                ; =>This Inner Loop Header: Depth=1
	s_load_dwordx2 s[30:31], s[12:13], 0x0
	s_waitcnt lgkmcnt(0)
	s_or_b64 s[0:1], s[24:25], s[30:31]
	s_mov_b32 s29, s1
	s_cmp_lg_u64 s[28:29], 0
	s_cbranch_scc0 .LBB0_11
; %bb.7:                                ;   in Loop: Header=BB0_6 Depth=1
	v_cvt_f32_u32_e32 v3, s30
	v_cvt_f32_u32_e32 v4, s31
	s_sub_u32 s0, 0, s30
	s_subb_u32 s1, 0, s31
	v_mac_f32_e32 v3, 0x4f800000, v4
	v_rcp_f32_e32 v3, v3
	v_mul_f32_e32 v3, 0x5f7ffffc, v3
	v_mul_f32_e32 v4, 0x2f800000, v3
	v_trunc_f32_e32 v4, v4
	v_mac_f32_e32 v3, 0xcf800000, v4
	v_cvt_u32_f32_e32 v4, v4
	v_cvt_u32_f32_e32 v3, v3
	v_readfirstlane_b32 s29, v4
	v_readfirstlane_b32 s34, v3
	s_mul_i32 s35, s0, s29
	s_mul_hi_u32 s38, s0, s34
	s_mul_i32 s37, s1, s34
	s_add_i32 s35, s38, s35
	s_mul_i32 s39, s0, s34
	s_add_i32 s35, s35, s37
	s_mul_hi_u32 s37, s34, s35
	s_mul_i32 s38, s34, s35
	s_mul_hi_u32 s34, s34, s39
	s_add_u32 s34, s34, s38
	s_addc_u32 s37, 0, s37
	s_mul_hi_u32 s40, s29, s39
	s_mul_i32 s39, s29, s39
	s_add_u32 s34, s34, s39
	s_mul_hi_u32 s38, s29, s35
	s_addc_u32 s34, s37, s40
	s_addc_u32 s37, s38, 0
	s_mul_i32 s35, s29, s35
	s_add_u32 s34, s34, s35
	s_addc_u32 s35, 0, s37
	v_add_co_u32_e32 v3, vcc, s34, v3
	s_cmp_lg_u64 vcc, 0
	s_addc_u32 s29, s29, s35
	v_readfirstlane_b32 s35, v3
	s_mul_i32 s34, s0, s29
	s_mul_hi_u32 s37, s0, s35
	s_add_i32 s34, s37, s34
	s_mul_i32 s1, s1, s35
	s_add_i32 s34, s34, s1
	s_mul_i32 s0, s0, s35
	s_mul_hi_u32 s37, s29, s0
	s_mul_i32 s38, s29, s0
	s_mul_i32 s40, s35, s34
	s_mul_hi_u32 s0, s35, s0
	s_mul_hi_u32 s39, s35, s34
	s_add_u32 s0, s0, s40
	s_addc_u32 s35, 0, s39
	s_add_u32 s0, s0, s38
	s_mul_hi_u32 s1, s29, s34
	s_addc_u32 s0, s35, s37
	s_addc_u32 s1, s1, 0
	s_mul_i32 s34, s29, s34
	s_add_u32 s0, s0, s34
	s_addc_u32 s1, 0, s1
	v_add_co_u32_e32 v3, vcc, s0, v3
	s_cmp_lg_u64 vcc, 0
	s_addc_u32 s0, s29, s1
	v_readfirstlane_b32 s34, v3
	s_mul_i32 s29, s24, s0
	s_mul_hi_u32 s35, s24, s34
	s_mul_hi_u32 s1, s24, s0
	s_add_u32 s29, s35, s29
	s_addc_u32 s1, 0, s1
	s_mul_hi_u32 s37, s25, s34
	s_mul_i32 s34, s25, s34
	s_add_u32 s29, s29, s34
	s_mul_hi_u32 s35, s25, s0
	s_addc_u32 s1, s1, s37
	s_addc_u32 s29, s35, 0
	s_mul_i32 s0, s25, s0
	s_add_u32 s34, s1, s0
	s_addc_u32 s29, 0, s29
	s_mul_i32 s0, s30, s29
	s_mul_hi_u32 s1, s30, s34
	s_add_i32 s0, s1, s0
	s_mul_i32 s1, s31, s34
	s_add_i32 s35, s0, s1
	s_mul_i32 s1, s30, s34
	v_mov_b32_e32 v3, s1
	s_sub_i32 s0, s25, s35
	v_sub_co_u32_e32 v3, vcc, s24, v3
	s_cmp_lg_u64 vcc, 0
	s_subb_u32 s37, s0, s31
	v_subrev_co_u32_e64 v4, s[0:1], s30, v3
	s_cmp_lg_u64 s[0:1], 0
	s_subb_u32 s0, s37, 0
	s_cmp_ge_u32 s0, s31
	v_readfirstlane_b32 s37, v4
	s_cselect_b32 s1, -1, 0
	s_cmp_ge_u32 s37, s30
	s_cselect_b32 s37, -1, 0
	s_cmp_eq_u32 s0, s31
	s_cselect_b32 s0, s37, s1
	s_add_u32 s1, s34, 1
	s_addc_u32 s37, s29, 0
	s_add_u32 s38, s34, 2
	s_addc_u32 s39, s29, 0
	s_cmp_lg_u32 s0, 0
	s_cselect_b32 s0, s38, s1
	s_cselect_b32 s1, s39, s37
	s_cmp_lg_u64 vcc, 0
	s_subb_u32 s35, s25, s35
	s_cmp_ge_u32 s35, s31
	v_readfirstlane_b32 s38, v3
	s_cselect_b32 s37, -1, 0
	s_cmp_ge_u32 s38, s30
	s_cselect_b32 s38, -1, 0
	s_cmp_eq_u32 s35, s31
	s_cselect_b32 s35, s38, s37
	s_cmp_lg_u32 s35, 0
	s_cselect_b32 s1, s1, s29
	s_cselect_b32 s0, s0, s34
	s_cbranch_execnz .LBB0_9
.LBB0_8:                                ;   in Loop: Header=BB0_6 Depth=1
	v_cvt_f32_u32_e32 v3, s30
	s_sub_i32 s0, 0, s30
	v_rcp_iflag_f32_e32 v3, v3
	v_mul_f32_e32 v3, 0x4f7ffffe, v3
	v_cvt_u32_f32_e32 v3, v3
	v_readfirstlane_b32 s1, v3
	s_mul_i32 s0, s0, s1
	s_mul_hi_u32 s0, s1, s0
	s_add_i32 s1, s1, s0
	s_mul_hi_u32 s0, s24, s1
	s_mul_i32 s29, s0, s30
	s_sub_i32 s29, s24, s29
	s_add_i32 s1, s0, 1
	s_sub_i32 s34, s29, s30
	s_cmp_ge_u32 s29, s30
	s_cselect_b32 s0, s1, s0
	s_cselect_b32 s29, s34, s29
	s_add_i32 s1, s0, 1
	s_cmp_ge_u32 s29, s30
	s_cselect_b32 s0, s1, s0
	s_mov_b32 s1, s28
.LBB0_9:                                ;   in Loop: Header=BB0_6 Depth=1
	s_mul_i32 s3, s30, s3
	s_mul_hi_u32 s29, s30, s2
	s_add_i32 s3, s29, s3
	s_mul_i32 s29, s31, s2
	s_add_i32 s3, s3, s29
	s_mul_i32 s29, s0, s31
	s_mul_hi_u32 s31, s0, s30
	s_load_dwordx2 s[34:35], s[4:5], 0x0
	s_add_i32 s29, s31, s29
	s_mul_i32 s31, s1, s30
	s_mul_i32 s2, s30, s2
	s_add_i32 s29, s29, s31
	s_mul_i32 s30, s0, s30
	s_sub_u32 s24, s24, s30
	s_subb_u32 s25, s25, s29
	s_waitcnt lgkmcnt(0)
	s_mul_i32 s25, s34, s25
	s_mul_hi_u32 s29, s34, s24
	s_add_i32 s25, s29, s25
	s_mul_i32 s29, s35, s24
	s_add_i32 s25, s25, s29
	s_mul_i32 s24, s34, s24
	s_add_u32 s19, s24, s19
	s_addc_u32 s36, s25, s36
	s_add_u32 s26, s26, 1
	s_addc_u32 s27, s27, 0
	;; [unrolled: 2-line block ×3, first 2 shown]
	v_cmp_ge_u64_e32 vcc, s[26:27], v[1:2]
	s_add_u32 s12, s12, 8
	s_addc_u32 s13, s13, 0
	s_cbranch_vccnz .LBB0_13
; %bb.10:                               ;   in Loop: Header=BB0_6 Depth=1
	s_mov_b64 s[24:25], s[0:1]
	s_branch .LBB0_6
.LBB0_11:                               ;   in Loop: Header=BB0_6 Depth=1
                                        ; implicit-def: $sgpr0_sgpr1
	s_branch .LBB0_8
.LBB0_12:
	v_mov_b32_e32 v1, s24
	v_mov_b32_e32 v2, s25
	s_branch .LBB0_15
.LBB0_13:
	v_mov_b32_e32 v1, s2
	v_mov_b32_e32 v2, s3
	v_cmp_lt_u64_e32 vcc, s[6:7], v[1:2]
	v_mov_b32_e32 v1, 0
	v_mov_b32_e32 v2, 0
	s_cbranch_vccnz .LBB0_15
; %bb.14:
	v_cvt_f32_u32_e32 v1, s2
	s_sub_i32 s0, 0, s2
	v_rcp_iflag_f32_e32 v1, v1
	v_mul_f32_e32 v1, 0x4f7ffffe, v1
	v_cvt_u32_f32_e32 v1, v1
	v_mul_lo_u32 v2, s0, v1
	v_mul_hi_u32 v2, v1, v2
	v_add_u32_e32 v1, v1, v2
	v_mul_hi_u32 v1, s6, v1
	v_mul_lo_u32 v2, v1, s2
	v_add_u32_e32 v3, 1, v1
	v_sub_u32_e32 v2, s6, v2
	v_subrev_u32_e32 v4, s2, v2
	v_cmp_le_u32_e32 vcc, s2, v2
	v_cndmask_b32_e32 v2, v2, v4, vcc
	v_cndmask_b32_e32 v1, v1, v3, vcc
	v_add_u32_e32 v3, 1, v1
	v_cmp_le_u32_e32 vcc, s2, v2
	v_cndmask_b32_e32 v1, v1, v3, vcc
.LBB0_15:
	s_lshl_b64 s[0:1], s[10:11], 3
	s_add_u32 s0, s14, s0
	s_addc_u32 s1, s15, s1
	s_load_dword s0, s[0:1], 0x0
	s_mov_b32 s1, 0x1999999a
	v_mul_hi_u32 v37, v0, s1
	v_mov_b32_e32 v2, s17
	s_mov_b32 s11, 0x20000
	s_waitcnt lgkmcnt(0)
	v_mul_lo_u32 v1, s0, v1
	v_mul_u32_u24_e32 v3, 10, v37
	v_sub_u32_e32 v38, v0, v3
	v_add_co_u32_e32 v35, vcc, s33, v38
	v_add_u32_e32 v3, s19, v1
	v_addc_co_u32_e32 v36, vcc, 0, v2, vcc
	s_add_u32 s0, s33, 10
	v_mov_b32_e32 v1, s22
	s_addc_u32 s1, s17, 0
	v_mov_b32_e32 v2, s23
	v_cmp_le_u64_e32 vcc, s[0:1], v[1:2]
	v_mad_u64_u32 v[33:34], s[0:1], s18, v38, 0
	s_movk_i32 s0, 0xef
	v_cmp_lt_u32_e64 s[4:5], s0, v0
	s_movk_i32 s0, 0xf0
	v_cmp_gt_u32_e64 s[2:3], s0, v0
	v_cmp_gt_u64_e64 s[0:1], s[22:23], v[35:36]
	v_mul_lo_u32 v1, s16, v37
	v_cndmask_b32_e64 v2, 0, 1, s[2:3]
	v_cndmask_b32_e64 v4, 0, 1, s[0:1]
	s_or_b64 s[4:5], s[4:5], vcc
	v_cndmask_b32_e64 v2, v4, v2, s[4:5]
	v_and_b32_e32 v2, 1, v2
	v_add_lshl_u32 v1, v33, v1, 4
	v_cmp_eq_u32_e64 s[4:5], 1, v2
	v_cndmask_b32_e64 v9, -1, v1, s[4:5]
	v_add_u32_e32 v1, 0x60, v37
	v_mul_lo_u32 v1, s16, v1
	v_add_u32_e32 v2, 48, v37
	v_mul_lo_u32 v2, s16, v2
	v_lshlrev_b32_e32 v34, 4, v3
	v_add_lshl_u32 v1, v33, v1, 4
	v_cndmask_b32_e64 v17, -1, v1, s[4:5]
	v_add_u32_e32 v1, 0x90, v37
	v_mul_lo_u32 v1, s16, v1
	v_add_lshl_u32 v29, v33, v2, 4
	v_add_u32_e32 v2, 24, v37
	v_add_u32_e32 v3, 0x78, v37
	v_mul_lo_u32 v2, s16, v2
	v_mul_lo_u32 v3, s16, v3
	v_add_lshl_u32 v1, v33, v1, 4
	s_mov_b32 s10, -2
	v_readfirstlane_b32 s6, v34
	v_cndmask_b32_e64 v30, -1, v1, s[4:5]
	v_add_lshl_u32 v1, v33, v2, 4
	v_add_lshl_u32 v2, v33, v3, 4
	v_cndmask_b32_e64 v10, -1, v1, s[4:5]
	v_cndmask_b32_e64 v18, -1, v2, s[4:5]
	buffer_load_dwordx4 v[1:4], v9, s[8:11], s6 offen
	buffer_load_dwordx4 v[5:8], v10, s[8:11], s6 offen
	v_add_u32_e32 v9, 0x48, v37
	v_mul_lo_u32 v19, s16, v9
	v_add_u32_e32 v9, 0xa8, v37
	v_mul_lo_u32 v20, s16, v9
	buffer_load_dwordx4 v[9:12], v17, s[8:11], s6 offen
	buffer_load_dwordx4 v[13:16], v18, s[8:11], s6 offen
	v_add_lshl_u32 v17, v33, v19, 4
	v_cndmask_b32_e64 v31, -1, v17, s[4:5]
	v_add_lshl_u32 v18, v33, v20, 4
	v_cndmask_b32_e64 v32, -1, v18, s[4:5]
	v_cndmask_b32_e64 v29, -1, v29, s[4:5]
	buffer_load_dwordx4 v[17:20], v31, s[8:11], s6 offen
	buffer_load_dwordx4 v[21:24], v30, s[8:11], s6 offen
	;; [unrolled: 1-line block ×3, first 2 shown]
	s_mov_b32 s4, 0x667f3bcd
	buffer_load_dwordx4 v[29:32], v29, s[8:11], s6 offen
	s_mov_b32 s5, 0xbfe6a09e
	s_mov_b32 s7, 0x3fe6a09e
	;; [unrolled: 1-line block ×3, first 2 shown]
	v_lshlrev_b32_e32 v36, 4, v38
	s_waitcnt vmcnt(5)
	v_add_f64 v[9:10], v[1:2], -v[9:10]
	v_add_f64 v[11:12], v[3:4], -v[11:12]
	s_waitcnt vmcnt(4)
	v_add_f64 v[13:14], v[5:6], -v[13:14]
	v_add_f64 v[15:16], v[7:8], -v[15:16]
	s_waitcnt vmcnt(1)
	v_add_f64 v[25:26], v[17:18], -v[25:26]
	v_add_f64 v[27:28], v[19:20], -v[27:28]
	s_waitcnt vmcnt(0)
	v_add_f64 v[21:22], v[29:30], -v[21:22]
	v_add_f64 v[23:24], v[31:32], -v[23:24]
	v_fma_f64 v[1:2], v[1:2], 2.0, -v[9:10]
	v_fma_f64 v[5:6], v[5:6], 2.0, -v[13:14]
	;; [unrolled: 1-line block ×5, first 2 shown]
	v_add_f64 v[25:26], v[15:16], -v[25:26]
	v_add_f64 v[41:42], v[11:12], -v[21:22]
	v_fma_f64 v[21:22], v[29:30], 2.0, -v[21:22]
	v_fma_f64 v[19:20], v[19:20], 2.0, -v[27:28]
	v_add_f64 v[27:28], v[13:14], v[27:28]
	v_add_f64 v[39:40], v[9:10], v[23:24]
	v_fma_f64 v[23:24], v[31:32], 2.0, -v[23:24]
	v_add_f64 v[17:18], v[5:6], -v[17:18]
	v_fma_f64 v[15:16], v[15:16], 2.0, -v[25:26]
	v_fma_f64 v[45:46], v[11:12], 2.0, -v[41:42]
	v_add_f64 v[47:48], v[1:2], -v[21:22]
	v_add_f64 v[19:20], v[7:8], -v[19:20]
	v_fma_f64 v[13:14], v[13:14], 2.0, -v[27:28]
	v_fma_f64 v[43:44], v[9:10], 2.0, -v[39:40]
	v_add_f64 v[49:50], v[3:4], -v[23:24]
	v_fma_f64 v[5:6], v[5:6], 2.0, -v[17:18]
	v_fma_f64 v[11:12], v[15:16], s[4:5], v[45:46]
	v_fma_f64 v[1:2], v[1:2], 2.0, -v[47:48]
	v_fma_f64 v[7:8], v[7:8], 2.0, -v[19:20]
	v_add_f64 v[29:30], v[47:48], v[19:20]
	v_fma_f64 v[9:10], v[13:14], s[4:5], v[43:44]
	v_fma_f64 v[3:4], v[3:4], 2.0, -v[49:50]
	v_add_f64 v[31:32], v[49:50], -v[17:18]
	v_fma_f64 v[11:12], v[13:14], s[4:5], v[11:12]
	v_fma_f64 v[13:14], v[27:28], s[6:7], v[39:40]
	v_add_f64 v[21:22], v[1:2], -v[5:6]
	v_fma_f64 v[5:6], v[25:26], s[6:7], v[41:42]
	v_fma_f64 v[9:10], v[15:16], s[6:7], v[9:10]
	v_add_f64 v[23:24], v[3:4], -v[7:8]
	v_fma_f64 v[17:18], v[47:48], 2.0, -v[29:30]
	v_fma_f64 v[19:20], v[49:50], 2.0, -v[31:32]
	;; [unrolled: 1-line block ×3, first 2 shown]
	v_fma_f64 v[25:26], v[25:26], s[6:7], v[13:14]
	v_fma_f64 v[1:2], v[1:2], 2.0, -v[21:22]
	v_fma_f64 v[27:28], v[27:28], s[4:5], v[5:6]
	v_fma_f64 v[5:6], v[43:44], 2.0, -v[9:10]
	v_fma_f64 v[3:4], v[3:4], 2.0, -v[23:24]
	;; [unrolled: 1-line block ×4, first 2 shown]
	s_and_saveexec_b64 s[4:5], s[2:3]
	s_cbranch_execz .LBB0_17
; %bb.16:
	v_mul_u32_u24_e32 v38, 0x50, v37
	v_lshlrev_b32_e32 v38, 4, v38
	v_add3_u32 v38, 0, v38, v36
	ds_write_b128 v38, v[1:4]
	ds_write_b128 v38, v[5:8] offset:160
	ds_write_b128 v38, v[17:20] offset:320
	ds_write_b128 v38, v[13:16] offset:480
	ds_write_b128 v38, v[21:24] offset:640
	ds_write_b128 v38, v[9:12] offset:800
	ds_write_b128 v38, v[29:32] offset:960
	ds_write_b128 v38, v[25:28] offset:1120
.LBB0_17:
	s_or_b64 exec, exec, s[4:5]
	s_movk_i32 s2, 0x140
	v_cmp_gt_u32_e64 s[2:3], s2, v0
	s_waitcnt lgkmcnt(0)
	s_barrier
	s_and_saveexec_b64 s[4:5], s[2:3]
	s_cbranch_execz .LBB0_19
; %bb.18:
	v_mul_u32_u24_e32 v1, 0xa0, v37
	v_add3_u32 v9, 0, v1, v36
	ds_read_b128 v[1:4], v9
	ds_read_b128 v[5:8], v9 offset:5120
	ds_read_b128 v[17:20], v9 offset:10240
	ds_read_b128 v[13:16], v9 offset:15360
	ds_read_b128 v[21:24], v9 offset:20480
	ds_read_b128 v[9:12], v9 offset:25600
.LBB0_19:
	s_or_b64 exec, exec, s[4:5]
	s_waitcnt lgkmcnt(0)
	s_barrier
	s_and_saveexec_b64 s[4:5], s[2:3]
	s_cbranch_execz .LBB0_21
; %bb.20:
	v_and_b32_e32 v44, 7, v37
	v_mul_u32_u24_e32 v25, 5, v44
	v_lshlrev_b32_e32 v45, 4, v25
	global_load_dwordx4 v[25:28], v45, s[20:21] offset:16
	global_load_dwordx4 v[29:32], v45, s[20:21] offset:48
	global_load_dwordx4 v[38:41], v45, s[20:21]
	s_mov_b32 s2, 0xe8584caa
	s_mov_b32 s3, 0xbfebb67a
	;; [unrolled: 1-line block ×4, first 2 shown]
	s_waitcnt vmcnt(2)
	v_mul_f64 v[42:43], v[17:18], v[27:28]
	v_mul_f64 v[27:28], v[19:20], v[27:28]
	v_fma_f64 v[42:43], v[19:20], v[25:26], -v[42:43]
	v_fma_f64 v[25:26], v[17:18], v[25:26], v[27:28]
	global_load_dwordx4 v[17:20], v45, s[20:21] offset:32
	s_waitcnt vmcnt(2)
	v_mul_f64 v[27:28], v[21:22], v[31:32]
	v_mul_f64 v[31:32], v[23:24], v[31:32]
	v_fma_f64 v[27:28], v[23:24], v[29:30], -v[27:28]
	v_fma_f64 v[29:30], v[21:22], v[29:30], v[31:32]
	global_load_dwordx4 v[21:24], v45, s[20:21] offset:64
	s_waitcnt vmcnt(1)
	v_mul_f64 v[31:32], v[13:14], v[19:20]
	v_mul_f64 v[19:20], v[15:16], v[19:20]
	v_fma_f64 v[15:16], v[15:16], v[17:18], -v[31:32]
	v_fma_f64 v[13:14], v[13:14], v[17:18], v[19:20]
	v_mul_f64 v[31:32], v[5:6], v[40:41]
	s_waitcnt vmcnt(0)
	v_mul_f64 v[17:18], v[9:10], v[23:24]
	v_mul_f64 v[19:20], v[11:12], v[23:24]
	;; [unrolled: 1-line block ×3, first 2 shown]
	v_add_f64 v[40:41], v[3:4], v[42:43]
	v_fma_f64 v[7:8], v[7:8], v[38:39], -v[31:32]
	v_fma_f64 v[11:12], v[11:12], v[21:22], -v[17:18]
	v_lshrrev_b32_e32 v17, 3, v37
	v_mul_u32_u24_e32 v17, 48, v17
	v_fma_f64 v[9:10], v[9:10], v[21:22], v[19:20]
	v_or_b32_e32 v44, v17, v44
	v_fma_f64 v[5:6], v[5:6], v[38:39], v[23:24]
	v_add_f64 v[19:20], v[42:43], v[27:28]
	v_add_f64 v[21:22], v[25:26], -v[29:30]
	v_add_f64 v[17:18], v[15:16], v[11:12]
	v_add_f64 v[23:24], v[15:16], -v[11:12]
	v_add_f64 v[15:16], v[7:8], v[15:16]
	v_add_f64 v[31:32], v[13:14], v[9:10]
	v_add_f64 v[38:39], v[13:14], -v[9:10]
	v_add_f64 v[13:14], v[5:6], v[13:14]
	v_fma_f64 v[3:4], v[19:20], -0.5, v[3:4]
	v_add_f64 v[19:20], v[40:41], v[27:28]
	v_fma_f64 v[7:8], v[17:18], -0.5, v[7:8]
	v_add_f64 v[17:18], v[42:43], -v[27:28]
	v_add_f64 v[42:43], v[25:26], v[29:30]
	v_add_f64 v[25:26], v[1:2], v[25:26]
	v_fma_f64 v[5:6], v[31:32], -0.5, v[5:6]
	v_add_f64 v[11:12], v[15:16], v[11:12]
	v_add_f64 v[9:10], v[13:14], v[9:10]
	v_fma_f64 v[27:28], v[38:39], s[2:3], v[7:8]
	v_fma_f64 v[7:8], v[38:39], s[6:7], v[7:8]
	v_fma_f64 v[1:2], v[42:43], -0.5, v[1:2]
	v_add_f64 v[15:16], v[25:26], v[29:30]
	v_fma_f64 v[13:14], v[23:24], s[6:7], v[5:6]
	v_fma_f64 v[5:6], v[23:24], s[2:3], v[5:6]
	;; [unrolled: 1-line block ×4, first 2 shown]
	v_mul_f64 v[23:24], v[27:28], -0.5
	v_mul_f64 v[25:26], v[7:8], 0.5
	v_mul_f64 v[7:8], v[7:8], s[2:3]
	v_mul_f64 v[27:28], v[27:28], s[2:3]
	v_fma_f64 v[38:39], v[17:18], s[2:3], v[1:2]
	v_fma_f64 v[31:32], v[17:18], s[6:7], v[1:2]
	v_add_f64 v[3:4], v[19:20], -v[11:12]
	v_add_f64 v[1:2], v[15:16], -v[9:10]
	v_fma_f64 v[23:24], v[13:14], s[6:7], v[23:24]
	v_fma_f64 v[25:26], v[5:6], s[6:7], v[25:26]
	v_fma_f64 v[40:41], v[5:6], 0.5, v[7:8]
	v_fma_f64 v[27:28], v[13:14], -0.5, v[27:28]
	v_add_f64 v[7:8], v[19:20], v[11:12]
	v_add_f64 v[5:6], v[15:16], v[9:10]
	v_add_f64 v[11:12], v[29:30], -v[23:24]
	v_add_f64 v[15:16], v[21:22], -v[25:26]
	v_add_f64 v[19:20], v[29:30], v[23:24]
	v_add_f64 v[23:24], v[21:22], v[25:26]
	;; [unrolled: 1-line block ×4, first 2 shown]
	v_add_f64 v[13:14], v[38:39], -v[40:41]
	v_add_f64 v[9:10], v[31:32], -v[27:28]
	v_mul_u32_u24_e32 v25, 0xa0, v44
	v_add3_u32 v25, 0, v25, v36
	ds_write_b128 v25, v[5:8]
	ds_write_b128 v25, v[1:4] offset:3840
	ds_write_b128 v25, v[21:24] offset:1280
	;; [unrolled: 1-line block ×5, first 2 shown]
.LBB0_21:
	s_or_b64 exec, exec, s[4:5]
	s_mov_b32 s2, 0x5555556
	v_mul_hi_u32 v17, v37, s2
	v_mul_u32_u24_e32 v1, 0xa0, v37
	v_add3_u32 v13, 0, v1, v36
	s_waitcnt lgkmcnt(0)
	v_mul_u32_u24_e32 v17, 48, v17
	v_sub_u32_e32 v19, v37, v17
	v_mul_u32_u24_e32 v17, 3, v19
	v_lshlrev_b32_e32 v17, 4, v17
	s_barrier
	ds_read_b128 v[1:4], v13
	ds_read_b128 v[5:8], v13 offset:7680
	ds_read_b128 v[9:12], v13 offset:15360
	;; [unrolled: 1-line block ×3, first 2 shown]
	global_load_dwordx4 v[20:23], v17, s[20:21] offset:672
	global_load_dwordx4 v[24:27], v17, s[20:21] offset:656
	;; [unrolled: 1-line block ×3, first 2 shown]
	s_add_i32 s2, 0, 0x7800
	v_mul_hi_u32_u24_e32 v0, 0x888889, v0
	v_mul_u32_u24_e32 v0, 0xc0, v0
	v_or_b32_e32 v0, v0, v19
	s_or_b64 vcc, vcc, s[0:1]
	v_readfirstlane_b32 s0, v34
	s_waitcnt vmcnt(0) lgkmcnt(2)
	v_mul_f64 v[17:18], v[7:8], v[30:31]
	v_fma_f64 v[17:18], v[5:6], v[28:29], v[17:18]
	v_mul_f64 v[5:6], v[5:6], v[30:31]
	v_fma_f64 v[5:6], v[7:8], v[28:29], -v[5:6]
	s_waitcnt lgkmcnt(1)
	v_mul_f64 v[7:8], v[11:12], v[26:27]
	v_mul_lo_u32 v28, v19, v35
	v_mul_lo_u32 v29, v35, 48
	v_fma_f64 v[7:8], v[9:10], v[24:25], v[7:8]
	v_mul_f64 v[9:10], v[9:10], v[26:27]
	v_add_f64 v[7:8], v[1:2], -v[7:8]
	v_fma_f64 v[9:10], v[11:12], v[24:25], -v[9:10]
	s_waitcnt lgkmcnt(0)
	v_mul_f64 v[11:12], v[15:16], v[22:23]
	v_fma_f64 v[1:2], v[1:2], 2.0, -v[7:8]
	v_add_f64 v[9:10], v[3:4], -v[9:10]
	v_fma_f64 v[11:12], v[13:14], v[20:21], v[11:12]
	v_mul_f64 v[13:14], v[13:14], v[22:23]
	v_fma_f64 v[3:4], v[3:4], 2.0, -v[9:10]
	v_fma_f64 v[13:14], v[15:16], v[20:21], -v[13:14]
	v_add_f64 v[15:16], v[17:18], -v[11:12]
	v_lshrrev_b32_e32 v20, 2, v28
	v_and_b32_e32 v20, 0x3f0, v20
	v_add_u32_e32 v20, s2, v20
	ds_read_b128 v[20:23], v20 offset:1024
	v_add_f64 v[13:14], v[5:6], -v[13:14]
	v_fma_f64 v[11:12], v[17:18], 2.0, -v[15:16]
	v_add_f64 v[15:16], v[9:10], -v[15:16]
	v_fma_f64 v[5:6], v[5:6], 2.0, -v[13:14]
	v_add_f64 v[11:12], v[1:2], -v[11:12]
	v_add_f64 v[13:14], v[7:8], v[13:14]
	v_fma_f64 v[9:10], v[9:10], 2.0, -v[15:16]
	v_add_f64 v[17:18], v[3:4], -v[5:6]
	v_fma_f64 v[5:6], v[1:2], 2.0, -v[11:12]
	v_and_b32_e32 v1, 63, v28
	v_lshl_add_u32 v1, v1, 4, 0
	v_fma_f64 v[7:8], v[7:8], 2.0, -v[13:14]
	v_fma_f64 v[24:25], v[3:4], 2.0, -v[17:18]
	ds_read_b128 v[1:4], v1 offset:30720
	s_waitcnt lgkmcnt(0)
	v_mul_f64 v[26:27], v[3:4], v[22:23]
	v_fma_f64 v[26:27], v[1:2], v[20:21], -v[26:27]
	v_mul_f64 v[1:2], v[1:2], v[22:23]
	v_fma_f64 v[20:21], v[3:4], v[20:21], v[1:2]
	v_lshrrev_b32_e32 v1, 8, v28
	v_and_b32_e32 v1, 0x3f0, v1
	v_add_u32_e32 v1, s2, v1
	ds_read_b128 v[1:4], v1 offset:2048
	v_add_u32_e32 v28, v28, v29
	s_waitcnt lgkmcnt(0)
	v_mul_f64 v[22:23], v[20:21], v[3:4]
	v_mul_f64 v[3:4], v[26:27], v[3:4]
	v_fma_f64 v[22:23], v[1:2], v[26:27], -v[22:23]
	v_fma_f64 v[3:4], v[1:2], v[20:21], v[3:4]
	v_mul_f64 v[1:2], v[24:25], v[3:4]
	v_mul_f64 v[3:4], v[5:6], v[3:4]
	v_fma_f64 v[1:2], v[5:6], v[22:23], v[1:2]
	v_and_b32_e32 v5, 63, v28
	v_lshl_add_u32 v5, v5, 4, 0
	v_fma_f64 v[3:4], v[24:25], v[22:23], -v[3:4]
	ds_read_b128 v[20:23], v5 offset:30720
	v_lshrrev_b32_e32 v5, 2, v28
	v_and_b32_e32 v5, 0x3f0, v5
	v_add_u32_e32 v5, s2, v5
	ds_read_b128 v[24:27], v5 offset:1024
	s_waitcnt lgkmcnt(0)
	v_mul_f64 v[5:6], v[22:23], v[26:27]
	v_fma_f64 v[5:6], v[20:21], v[24:25], -v[5:6]
	v_mul_f64 v[20:21], v[20:21], v[26:27]
	v_fma_f64 v[24:25], v[22:23], v[24:25], v[20:21]
	v_lshrrev_b32_e32 v20, 8, v28
	v_and_b32_e32 v20, 0x3f0, v20
	v_add_u32_e32 v20, s2, v20
	ds_read_b128 v[20:23], v20 offset:2048
	v_add_u32_e32 v28, v28, v29
	s_waitcnt lgkmcnt(0)
	v_mul_f64 v[26:27], v[24:25], v[22:23]
	v_fma_f64 v[26:27], v[20:21], v[5:6], -v[26:27]
	v_mul_f64 v[5:6], v[5:6], v[22:23]
	v_fma_f64 v[20:21], v[20:21], v[24:25], v[5:6]
	v_mul_f64 v[5:6], v[9:10], v[20:21]
	v_fma_f64 v[5:6], v[7:8], v[26:27], v[5:6]
	v_mul_f64 v[7:8], v[7:8], v[20:21]
	v_fma_f64 v[7:8], v[9:10], v[26:27], -v[7:8]
	v_and_b32_e32 v9, 63, v28
	v_lshl_add_u32 v9, v9, 4, 0
	ds_read_b128 v[20:23], v9 offset:30720
	v_lshrrev_b32_e32 v9, 2, v28
	v_and_b32_e32 v9, 0x3f0, v9
	v_add_u32_e32 v9, s2, v9
	ds_read_b128 v[24:27], v9 offset:1024
	s_waitcnt lgkmcnt(0)
	v_mul_f64 v[9:10], v[22:23], v[26:27]
	v_fma_f64 v[9:10], v[20:21], v[24:25], -v[9:10]
	v_mul_f64 v[20:21], v[20:21], v[26:27]
	v_fma_f64 v[24:25], v[22:23], v[24:25], v[20:21]
	v_lshrrev_b32_e32 v20, 8, v28
	v_and_b32_e32 v20, 0x3f0, v20
	v_add_u32_e32 v20, s2, v20
	ds_read_b128 v[20:23], v20 offset:2048
	v_add_u32_e32 v28, v28, v29
	s_waitcnt lgkmcnt(0)
	v_mul_f64 v[26:27], v[24:25], v[22:23]
	v_fma_f64 v[26:27], v[20:21], v[9:10], -v[26:27]
	v_mul_f64 v[9:10], v[9:10], v[22:23]
	v_fma_f64 v[20:21], v[20:21], v[24:25], v[9:10]
	v_mul_f64 v[9:10], v[17:18], v[20:21]
	v_fma_f64 v[9:10], v[11:12], v[26:27], v[9:10]
	v_mul_f64 v[11:12], v[11:12], v[20:21]
	v_fma_f64 v[11:12], v[17:18], v[26:27], -v[11:12]
	v_and_b32_e32 v17, 63, v28
	v_lshl_add_u32 v17, v17, 4, 0
	ds_read_b128 v[20:23], v17 offset:30720
	v_lshrrev_b32_e32 v17, 2, v28
	v_and_b32_e32 v17, 0x3f0, v17
	v_add_u32_e32 v17, s2, v17
	ds_read_b128 v[24:27], v17 offset:1024
	s_waitcnt lgkmcnt(0)
	v_mul_f64 v[17:18], v[22:23], v[26:27]
	v_fma_f64 v[17:18], v[20:21], v[24:25], -v[17:18]
	v_mul_f64 v[20:21], v[20:21], v[26:27]
	v_fma_f64 v[24:25], v[22:23], v[24:25], v[20:21]
	v_lshrrev_b32_e32 v20, 8, v28
	v_and_b32_e32 v20, 0x3f0, v20
	v_add_u32_e32 v20, s2, v20
	ds_read_b128 v[20:23], v20 offset:2048
	s_waitcnt lgkmcnt(0)
	v_mul_f64 v[26:27], v[24:25], v[22:23]
	v_fma_f64 v[26:27], v[20:21], v[17:18], -v[26:27]
	v_mul_f64 v[17:18], v[17:18], v[22:23]
	v_fma_f64 v[17:18], v[20:21], v[24:25], v[17:18]
	v_mul_f64 v[20:21], v[15:16], v[17:18]
	v_fma_f64 v[20:21], v[13:14], v[26:27], v[20:21]
	v_mul_f64 v[13:14], v[13:14], v[17:18]
	v_fma_f64 v[22:23], v[15:16], v[26:27], -v[13:14]
	v_mul_lo_u32 v13, s16, v0
	v_add_lshl_u32 v13, v33, v13, 4
	v_cndmask_b32_e32 v13, -1, v13, vcc
	buffer_store_dwordx4 v[1:4], v13, s[8:11], s0 offen
	v_add_u32_e32 v1, 48, v0
	v_mul_lo_u32 v1, s16, v1
	v_add_lshl_u32 v1, v33, v1, 4
	v_cndmask_b32_e32 v1, -1, v1, vcc
	buffer_store_dwordx4 v[5:8], v1, s[8:11], s0 offen
	v_add_u32_e32 v1, 0x60, v0
	v_add_u32_e32 v0, 0x90, v0
	v_mul_lo_u32 v1, s16, v1
	v_mul_lo_u32 v0, s16, v0
	v_add_lshl_u32 v1, v33, v1, 4
	v_add_lshl_u32 v0, v33, v0, 4
	v_cndmask_b32_e32 v1, -1, v1, vcc
	v_cndmask_b32_e32 v0, -1, v0, vcc
	buffer_store_dwordx4 v[9:12], v1, s[8:11], s0 offen
	buffer_store_dwordx4 v[20:23], v0, s[8:11], s0 offen
	s_endpgm
	.section	.rodata,"a",@progbits
	.p2align	6, 0x0
	.amdhsa_kernel fft_rtc_back_len192_factors_8_6_4_wgs_480_tpt_48_dp_ip_CI_sbcc_twdbase6_3step_dirReg_intrinsicReadWrite
		.amdhsa_group_segment_fixed_size 0
		.amdhsa_private_segment_fixed_size 0
		.amdhsa_kernarg_size 96
		.amdhsa_user_sgpr_count 6
		.amdhsa_user_sgpr_private_segment_buffer 1
		.amdhsa_user_sgpr_dispatch_ptr 0
		.amdhsa_user_sgpr_queue_ptr 0
		.amdhsa_user_sgpr_kernarg_segment_ptr 1
		.amdhsa_user_sgpr_dispatch_id 0
		.amdhsa_user_sgpr_flat_scratch_init 0
		.amdhsa_user_sgpr_private_segment_size 0
		.amdhsa_uses_dynamic_stack 0
		.amdhsa_system_sgpr_private_segment_wavefront_offset 0
		.amdhsa_system_sgpr_workgroup_id_x 1
		.amdhsa_system_sgpr_workgroup_id_y 0
		.amdhsa_system_sgpr_workgroup_id_z 0
		.amdhsa_system_sgpr_workgroup_info 0
		.amdhsa_system_vgpr_workitem_id 0
		.amdhsa_next_free_vgpr 51
		.amdhsa_next_free_sgpr 41
		.amdhsa_reserve_vcc 1
		.amdhsa_reserve_flat_scratch 0
		.amdhsa_float_round_mode_32 0
		.amdhsa_float_round_mode_16_64 0
		.amdhsa_float_denorm_mode_32 3
		.amdhsa_float_denorm_mode_16_64 3
		.amdhsa_dx10_clamp 1
		.amdhsa_ieee_mode 1
		.amdhsa_fp16_overflow 0
		.amdhsa_exception_fp_ieee_invalid_op 0
		.amdhsa_exception_fp_denorm_src 0
		.amdhsa_exception_fp_ieee_div_zero 0
		.amdhsa_exception_fp_ieee_overflow 0
		.amdhsa_exception_fp_ieee_underflow 0
		.amdhsa_exception_fp_ieee_inexact 0
		.amdhsa_exception_int_div_zero 0
	.end_amdhsa_kernel
	.text
.Lfunc_end0:
	.size	fft_rtc_back_len192_factors_8_6_4_wgs_480_tpt_48_dp_ip_CI_sbcc_twdbase6_3step_dirReg_intrinsicReadWrite, .Lfunc_end0-fft_rtc_back_len192_factors_8_6_4_wgs_480_tpt_48_dp_ip_CI_sbcc_twdbase6_3step_dirReg_intrinsicReadWrite
                                        ; -- End function
	.section	.AMDGPU.csdata,"",@progbits
; Kernel info:
; codeLenInByte = 4656
; NumSgprs: 45
; NumVgprs: 51
; ScratchSize: 0
; MemoryBound: 0
; FloatMode: 240
; IeeeMode: 1
; LDSByteSize: 0 bytes/workgroup (compile time only)
; SGPRBlocks: 5
; VGPRBlocks: 12
; NumSGPRsForWavesPerEU: 45
; NumVGPRsForWavesPerEU: 51
; Occupancy: 4
; WaveLimiterHint : 0
; COMPUTE_PGM_RSRC2:SCRATCH_EN: 0
; COMPUTE_PGM_RSRC2:USER_SGPR: 6
; COMPUTE_PGM_RSRC2:TRAP_HANDLER: 0
; COMPUTE_PGM_RSRC2:TGID_X_EN: 1
; COMPUTE_PGM_RSRC2:TGID_Y_EN: 0
; COMPUTE_PGM_RSRC2:TGID_Z_EN: 0
; COMPUTE_PGM_RSRC2:TIDIG_COMP_CNT: 0
	.type	__hip_cuid_365f91dce790b78f,@object ; @__hip_cuid_365f91dce790b78f
	.section	.bss,"aw",@nobits
	.globl	__hip_cuid_365f91dce790b78f
__hip_cuid_365f91dce790b78f:
	.byte	0                               ; 0x0
	.size	__hip_cuid_365f91dce790b78f, 1

	.ident	"AMD clang version 19.0.0git (https://github.com/RadeonOpenCompute/llvm-project roc-6.4.0 25133 c7fe45cf4b819c5991fe208aaa96edf142730f1d)"
	.section	".note.GNU-stack","",@progbits
	.addrsig
	.addrsig_sym __hip_cuid_365f91dce790b78f
	.amdgpu_metadata
---
amdhsa.kernels:
  - .args:
      - .actual_access:  read_only
        .address_space:  global
        .offset:         0
        .size:           8
        .value_kind:     global_buffer
      - .address_space:  global
        .offset:         8
        .size:           8
        .value_kind:     global_buffer
      - .offset:         16
        .size:           8
        .value_kind:     by_value
      - .actual_access:  read_only
        .address_space:  global
        .offset:         24
        .size:           8
        .value_kind:     global_buffer
      - .actual_access:  read_only
        .address_space:  global
        .offset:         32
        .size:           8
        .value_kind:     global_buffer
      - .offset:         40
        .size:           8
        .value_kind:     by_value
      - .actual_access:  read_only
        .address_space:  global
        .offset:         48
        .size:           8
        .value_kind:     global_buffer
      - .actual_access:  read_only
        .address_space:  global
        .offset:         56
        .size:           8
        .value_kind:     global_buffer
      - .offset:         64
        .size:           4
        .value_kind:     by_value
      - .actual_access:  read_only
        .address_space:  global
        .offset:         72
        .size:           8
        .value_kind:     global_buffer
      - .actual_access:  read_only
        .address_space:  global
        .offset:         80
        .size:           8
        .value_kind:     global_buffer
      - .address_space:  global
        .offset:         88
        .size:           8
        .value_kind:     global_buffer
    .group_segment_fixed_size: 0
    .kernarg_segment_align: 8
    .kernarg_segment_size: 96
    .language:       OpenCL C
    .language_version:
      - 2
      - 0
    .max_flat_workgroup_size: 480
    .name:           fft_rtc_back_len192_factors_8_6_4_wgs_480_tpt_48_dp_ip_CI_sbcc_twdbase6_3step_dirReg_intrinsicReadWrite
    .private_segment_fixed_size: 0
    .sgpr_count:     45
    .sgpr_spill_count: 0
    .symbol:         fft_rtc_back_len192_factors_8_6_4_wgs_480_tpt_48_dp_ip_CI_sbcc_twdbase6_3step_dirReg_intrinsicReadWrite.kd
    .uniform_work_group_size: 1
    .uses_dynamic_stack: false
    .vgpr_count:     51
    .vgpr_spill_count: 0
    .wavefront_size: 64
amdhsa.target:   amdgcn-amd-amdhsa--gfx906
amdhsa.version:
  - 1
  - 2
...

	.end_amdgpu_metadata
